;; amdgpu-corpus repo=ROCm/rocFFT kind=compiled arch=gfx1201 opt=O3
	.text
	.amdgcn_target "amdgcn-amd-amdhsa--gfx1201"
	.amdhsa_code_object_version 6
	.protected	bluestein_single_back_len56_dim1_sp_op_CI_CI ; -- Begin function bluestein_single_back_len56_dim1_sp_op_CI_CI
	.globl	bluestein_single_back_len56_dim1_sp_op_CI_CI
	.p2align	8
	.type	bluestein_single_back_len56_dim1_sp_op_CI_CI,@function
bluestein_single_back_len56_dim1_sp_op_CI_CI: ; @bluestein_single_back_len56_dim1_sp_op_CI_CI
; %bb.0:
	s_load_b128 s[16:19], s[0:1], 0x28
	v_lshrrev_b32_e32 v1, 3, v0
	v_mov_b32_e32 v17, 0
	s_mov_b32 s2, exec_lo
	s_delay_alu instid0(VALU_DEP_2) | instskip(SKIP_1) | instid1(VALU_DEP_1)
	v_lshl_or_b32 v16, ttmp9, 4, v1
	s_wait_kmcnt 0x0
	v_cmpx_gt_u64_e64 s[16:17], v[16:17]
	s_cbranch_execz .LBB0_10
; %bb.1:
	s_clause 0x1
	s_load_b128 s[4:7], s[0:1], 0x18
	s_load_b128 s[8:11], s[0:1], 0x0
	v_mul_u32_u24_e32 v35, 56, v1
	s_load_b64 s[0:1], s[0:1], 0x38
	s_wait_kmcnt 0x0
	s_load_b128 s[12:15], s[4:5], 0x0
	s_wait_kmcnt 0x0
	v_mad_co_u64_u32 v[2:3], null, s14, v16, 0
	v_and_b32_e32 v47, 7, v0
	s_lshl_b64 s[2:3], s[12:13], 6
	s_delay_alu instid0(VALU_DEP_2) | instskip(NEXT) | instid1(VALU_DEP_2)
	v_mov_b32_e32 v0, v3
	v_mad_co_u64_u32 v[4:5], null, s12, v47, 0
	v_lshlrev_b32_e32 v50, 3, v47
	s_clause 0x3
	global_load_b64 v[17:18], v50, s[8:9]
	global_load_b64 v[19:20], v50, s[8:9] offset:64
	global_load_b64 v[23:24], v50, s[8:9] offset:128
	;; [unrolled: 1-line block ×3, first 2 shown]
	v_mov_b32_e32 v3, v5
	v_mad_co_u64_u32 v[5:6], null, s15, v16, v[0:1]
	global_load_b64 v[21:22], v50, s[8:9] offset:256
	v_lshl_or_b32 v48, v35, 3, v50
	v_mad_co_u64_u32 v[6:7], null, s13, v47, v[3:4]
	v_mov_b32_e32 v3, v5
	s_delay_alu instid0(VALU_DEP_2) | instskip(NEXT) | instid1(VALU_DEP_2)
	v_mov_b32_e32 v5, v6
	v_lshlrev_b64_e32 v[2:3], 3, v[2:3]
	s_delay_alu instid0(VALU_DEP_2) | instskip(NEXT) | instid1(VALU_DEP_2)
	v_lshlrev_b64_e32 v[4:5], 3, v[4:5]
	v_add_co_u32 v0, vcc_lo, s18, v2
	s_delay_alu instid0(VALU_DEP_3) | instskip(NEXT) | instid1(VALU_DEP_2)
	v_add_co_ci_u32_e32 v3, vcc_lo, s19, v3, vcc_lo
	v_add_co_u32 v2, vcc_lo, v0, v4
	s_wait_alu 0xfffd
	s_delay_alu instid0(VALU_DEP_2) | instskip(SKIP_1) | instid1(VALU_DEP_3)
	v_add_co_ci_u32_e32 v3, vcc_lo, v3, v5, vcc_lo
	v_or_b32_e32 v0, v35, v47
	v_add_co_u32 v4, vcc_lo, v2, s2
	s_wait_alu 0xfffd
	s_delay_alu instid0(VALU_DEP_3)
	v_add_co_ci_u32_e32 v5, vcc_lo, s3, v3, vcc_lo
	global_load_b64 v[2:3], v[2:3], off
	v_add_co_u32 v6, vcc_lo, v4, s2
	s_wait_alu 0xfffd
	v_add_co_ci_u32_e32 v7, vcc_lo, s3, v5, vcc_lo
	global_load_b64 v[4:5], v[4:5], off
	v_add_co_u32 v8, vcc_lo, v6, s2
	s_wait_alu 0xfffd
	v_add_co_ci_u32_e32 v9, vcc_lo, s3, v7, vcc_lo
	v_lshlrev_b32_e32 v49, 3, v0
	s_delay_alu instid0(VALU_DEP_3) | instskip(SKIP_1) | instid1(VALU_DEP_3)
	v_add_co_u32 v10, vcc_lo, v8, s2
	s_wait_alu 0xfffd
	v_add_co_ci_u32_e32 v11, vcc_lo, s3, v9, vcc_lo
	s_clause 0x1
	global_load_b64 v[6:7], v[6:7], off
	global_load_b64 v[8:9], v[8:9], off
	v_add_co_u32 v12, vcc_lo, v10, s2
	s_wait_alu 0xfffd
	v_add_co_ci_u32_e32 v13, vcc_lo, s3, v11, vcc_lo
	global_load_b64 v[10:11], v[10:11], off
	v_add_co_u32 v14, vcc_lo, v12, s2
	s_wait_alu 0xfffd
	v_add_co_ci_u32_e32 v15, vcc_lo, s3, v13, vcc_lo
	global_load_b64 v[12:13], v[12:13], off
	s_clause 0x1
	global_load_b64 v[27:28], v50, s[8:9] offset:320
	global_load_b64 v[29:30], v50, s[8:9] offset:384
	global_load_b64 v[14:15], v[14:15], off
	s_load_b128 s[4:7], s[6:7], 0x0
	v_cmp_ne_u32_e32 vcc_lo, 7, v47
	s_wait_loadcnt 0x8
	v_mul_f32_e32 v0, v3, v18
	v_mul_f32_e32 v1, v2, v18
	s_delay_alu instid0(VALU_DEP_2) | instskip(SKIP_2) | instid1(VALU_DEP_1)
	v_fmac_f32_e32 v0, v2, v17
	s_wait_loadcnt 0x7
	v_mul_f32_e32 v32, v4, v20
	v_fma_f32 v32, v5, v19, -v32
	s_wait_loadcnt 0x6
	v_mul_f32_e32 v2, v7, v24
	v_mul_f32_e32 v31, v5, v20
	v_fma_f32 v1, v3, v17, -v1
	v_mul_f32_e32 v3, v6, v24
	s_delay_alu instid0(VALU_DEP_4)
	v_fmac_f32_e32 v2, v6, v23
	s_wait_loadcnt 0x4
	v_dual_mul_f32 v6, v11, v22 :: v_dual_fmac_f32 v31, v4, v19
	v_mul_f32_e32 v4, v9, v26
	v_mul_f32_e32 v5, v8, v26
	v_fma_f32 v3, v7, v23, -v3
	s_delay_alu instid0(VALU_DEP_4) | instskip(NEXT) | instid1(VALU_DEP_4)
	v_fmac_f32_e32 v6, v10, v21
	v_dual_mul_f32 v7, v10, v22 :: v_dual_fmac_f32 v4, v8, v25
	s_delay_alu instid0(VALU_DEP_4) | instskip(SKIP_4) | instid1(VALU_DEP_3)
	v_fma_f32 v5, v9, v25, -v5
	s_wait_loadcnt 0x0
	v_dual_mul_f32 v8, v13, v28 :: v_dual_mul_f32 v33, v14, v30
	v_dual_mul_f32 v9, v12, v28 :: v_dual_mul_f32 v10, v15, v30
	v_fma_f32 v7, v11, v21, -v7
	v_fmac_f32_e32 v8, v12, v27
	s_delay_alu instid0(VALU_DEP_4) | instskip(NEXT) | instid1(VALU_DEP_4)
	v_fma_f32 v11, v15, v29, -v33
	v_fma_f32 v9, v13, v27, -v9
	v_fmac_f32_e32 v10, v14, v29
	ds_store_b64 v49, v[0:1]
	ds_store_2addr_b64 v48, v[31:32], v[2:3] offset0:8 offset1:16
	ds_store_2addr_b64 v48, v[4:5], v[6:7] offset0:24 offset1:32
	;; [unrolled: 1-line block ×3, first 2 shown]
	global_wb scope:SCOPE_SE
	s_wait_dscnt 0x0
	s_wait_kmcnt 0x0
	s_barrier_signal -1
	s_barrier_wait -1
	global_inv scope:SCOPE_SE
	ds_load_2addr_b64 v[3:6], v48 offset0:8 offset1:16
	ds_load_2addr_b64 v[7:10], v48 offset0:40 offset1:48
	;; [unrolled: 1-line block ×3, first 2 shown]
	ds_load_b64 v[11:12], v49
	v_mov_b32_e32 v1, 0
	v_mov_b32_e32 v2, 0
	v_mul_u32_u24_e32 v0, 7, v47
	v_add_co_u32 v14, s2, s8, v50
	s_wait_alu 0xf1ff
	v_add_co_ci_u32_e64 v15, null, s9, 0, s2
	s_delay_alu instid0(VALU_DEP_3)
	v_add_lshl_u32 v51, v35, v0, 3
	global_wb scope:SCOPE_SE
	s_wait_dscnt 0x0
	s_barrier_signal -1
	s_barrier_wait -1
	global_inv scope:SCOPE_SE
	v_dual_add_f32 v13, v4, v10 :: v_dual_add_f32 v2, v3, v9
	v_dual_sub_f32 v3, v3, v9 :: v_dual_sub_f32 v4, v4, v10
	v_dual_add_f32 v9, v5, v7 :: v_dual_add_f32 v10, v6, v8
	v_sub_f32_e32 v5, v5, v7
	v_dual_add_f32 v7, v31, v33 :: v_dual_sub_f32 v6, v6, v8
	v_dual_sub_f32 v31, v33, v31 :: v_dual_add_f32 v8, v32, v34
	s_delay_alu instid0(VALU_DEP_4) | instskip(SKIP_1) | instid1(VALU_DEP_3)
	v_dual_sub_f32 v32, v34, v32 :: v_dual_add_f32 v33, v9, v2
	v_dual_add_f32 v34, v10, v13 :: v_dual_sub_f32 v37, v9, v2
	v_dual_sub_f32 v2, v2, v7 :: v_dual_add_f32 v35, v31, v5
	v_sub_f32_e32 v9, v7, v9
	v_dual_sub_f32 v38, v10, v13 :: v_dual_sub_f32 v13, v13, v8
	v_dual_sub_f32 v10, v8, v10 :: v_dual_sub_f32 v39, v31, v5
	v_dual_add_f32 v36, v32, v6 :: v_dual_sub_f32 v31, v3, v31
	v_dual_sub_f32 v40, v32, v6 :: v_dual_sub_f32 v5, v5, v3
	v_dual_sub_f32 v32, v4, v32 :: v_dual_add_f32 v7, v7, v33
	v_dual_sub_f32 v6, v6, v4 :: v_dual_add_f32 v3, v35, v3
	v_dual_add_f32 v8, v8, v34 :: v_dual_mul_f32 v13, 0x3f4a47b2, v13
	v_dual_add_f32 v4, v36, v4 :: v_dual_mul_f32 v33, 0x3d64c772, v9
	s_delay_alu instid0(VALU_DEP_4) | instskip(SKIP_3) | instid1(VALU_DEP_4)
	v_dual_mul_f32 v2, 0x3f4a47b2, v2 :: v_dual_add_f32 v35, v11, v7
	v_mul_f32_e32 v34, 0x3d64c772, v10
	v_dual_mul_f32 v39, 0xbf08b237, v39 :: v_dual_mul_f32 v40, 0xbf08b237, v40
	v_dual_mul_f32 v41, 0x3f5ff5aa, v5 :: v_dual_mul_f32 v42, 0x3f5ff5aa, v6
	v_dual_add_f32 v36, v12, v8 :: v_dual_fmamk_f32 v9, v9, 0x3d64c772, v2
	v_fma_f32 v11, 0x3f3bfb3b, v37, -v33
	v_fma_f32 v12, 0x3f3bfb3b, v38, -v34
	;; [unrolled: 1-line block ×3, first 2 shown]
	v_fmamk_f32 v37, v31, 0x3eae86e6, v39
	v_fma_f32 v5, 0x3f5ff5aa, v5, -v39
	v_fma_f32 v6, 0x3f5ff5aa, v6, -v40
	;; [unrolled: 1-line block ×3, first 2 shown]
	v_dual_fmamk_f32 v7, v7, 0xbf955555, v35 :: v_dual_fmamk_f32 v8, v8, 0xbf955555, v36
	v_fmamk_f32 v10, v10, 0x3d64c772, v13
	v_fma_f32 v13, 0xbf3bfb3b, v38, -v13
	v_fmamk_f32 v38, v32, 0x3eae86e6, v40
	v_fma_f32 v32, 0xbeae86e6, v32, -v42
	v_fmac_f32_e32 v37, 0x3ee1c552, v3
	v_dual_fmac_f32 v5, 0x3ee1c552, v3 :: v_dual_fmac_f32 v6, 0x3ee1c552, v4
	s_delay_alu instid0(VALU_DEP_3) | instskip(SKIP_4) | instid1(VALU_DEP_3)
	v_dual_fmac_f32 v31, 0x3ee1c552, v3 :: v_dual_fmac_f32 v32, 0x3ee1c552, v4
	v_add_f32_e32 v3, v9, v7
	v_dual_add_f32 v9, v11, v7 :: v_dual_fmac_f32 v38, 0x3ee1c552, v4
	v_add_f32_e32 v4, v10, v8
	v_dual_add_f32 v2, v2, v7 :: v_dual_add_f32 v7, v13, v8
	v_dual_add_f32 v8, v12, v8 :: v_dual_sub_f32 v41, v9, v6
	s_delay_alu instid0(VALU_DEP_3) | instskip(NEXT) | instid1(VALU_DEP_3)
	v_dual_add_f32 v45, v3, v38 :: v_dual_sub_f32 v46, v4, v37
	v_sub_f32_e32 v33, v2, v32
	s_delay_alu instid0(VALU_DEP_4) | instskip(NEXT) | instid1(VALU_DEP_4)
	v_dual_add_f32 v43, v32, v2 :: v_dual_sub_f32 v44, v7, v31
	v_dual_add_f32 v42, v5, v8 :: v_dual_add_f32 v39, v6, v9
	v_dual_sub_f32 v40, v8, v5 :: v_dual_add_f32 v13, v37, v4
	v_add_f32_e32 v34, v31, v7
	v_sub_f32_e32 v12, v3, v38
	ds_store_2addr_b64 v51, v[35:36], v[45:46] offset1:1
	ds_store_2addr_b64 v51, v[43:44], v[41:42] offset0:2 offset1:3
	ds_store_2addr_b64 v51, v[39:40], v[33:34] offset0:4 offset1:5
	ds_store_b64 v51, v[12:13] offset:48
	global_wb scope:SCOPE_SE
	s_wait_dscnt 0x0
	s_barrier_signal -1
	s_barrier_wait -1
	global_inv scope:SCOPE_SE
                                        ; implicit-def: $vgpr37
	s_and_saveexec_b32 s2, vcc_lo
	s_cbranch_execz .LBB0_3
; %bb.2:
	ds_load_2addr_b64 v[10:13], v48 offset0:35 offset1:42
	ds_load_2addr_b64 v[3:6], v48 offset0:21 offset1:28
	ds_load_2addr_b64 v[52:55], v48 offset0:7 offset1:14
	ds_load_b64 v[35:36], v49
	ds_load_b64 v[37:38], v48 offset:392
	s_wait_dscnt 0x4
	v_dual_mov_b32 v2, v1 :: v_dual_mov_b32 v33, v10
	v_dual_mov_b32 v1, v0 :: v_dual_mov_b32 v34, v11
	s_wait_dscnt 0x3
	v_dual_mov_b32 v39, v5 :: v_dual_mov_b32 v40, v6
	v_dual_mov_b32 v41, v3 :: v_dual_mov_b32 v42, v4
	;; [unrolled: 3-line block ×3, first 2 shown]
.LBB0_3:
	s_wait_alu 0xfffe
	s_or_b32 exec_lo, exec_lo, s2
	v_lshlrev_b32_e32 v31, 3, v1
	s_clause 0x3
	global_load_b128 v[4:7], v31, s[10:11]
	global_load_b128 v[0:3], v31, s[10:11] offset:16
	global_load_b128 v[8:11], v31, s[10:11] offset:32
	global_load_b64 v[31:32], v31, s[10:11] offset:48
	s_wait_loadcnt 0x3
	v_mul_f32_e32 v56, v44, v7
	s_wait_loadcnt 0x2
	v_dual_mul_f32 v52, v45, v5 :: v_dual_mul_f32 v59, v39, v3
	s_wait_loadcnt_dscnt 0x0
	v_dual_mul_f32 v53, v41, v1 :: v_dual_mul_f32 v64, v38, v32
	v_dual_mul_f32 v62, v13, v11 :: v_dual_mul_f32 v55, v46, v5
	;; [unrolled: 1-line block ×3, first 2 shown]
	v_mul_f32_e32 v58, v40, v3
	v_dual_mul_f32 v60, v34, v9 :: v_dual_mul_f32 v63, v12, v11
	v_dual_mul_f32 v61, v33, v9 :: v_dual_fmac_f32 v52, v46, v4
	s_delay_alu instid0(VALU_DEP_4)
	v_dual_mul_f32 v65, v37, v32 :: v_dual_fmac_f32 v54, v44, v6
	v_fma_f32 v43, v43, v6, -v56
	v_fmac_f32_e32 v53, v42, v0
	v_fma_f32 v12, v12, v10, -v62
	v_fmac_f32_e32 v59, v40, v2
	v_fma_f32 v45, v45, v4, -v55
	v_fma_f32 v41, v41, v0, -v57
	;; [unrolled: 1-line block ×3, first 2 shown]
	v_sub_f32_e32 v44, v43, v12
	v_fma_f32 v33, v33, v8, -v60
	v_fmac_f32_e32 v61, v34, v8
	v_fma_f32 v34, v37, v31, -v64
	v_fmac_f32_e32 v65, v38, v31
	v_dual_sub_f32 v38, v36, v59 :: v_dual_fmac_f32 v63, v13, v10
	v_sub_f32_e32 v37, v45, v33
	s_delay_alu instid0(VALU_DEP_2) | instskip(SKIP_1) | instid1(VALU_DEP_4)
	v_dual_sub_f32 v57, v41, v34 :: v_dual_add_f32 v42, v38, v44
	v_sub_f32_e32 v13, v35, v39
	v_dual_sub_f32 v56, v54, v63 :: v_dual_sub_f32 v39, v52, v61
	s_delay_alu instid0(VALU_DEP_1) | instskip(NEXT) | instid1(VALU_DEP_1)
	v_add_f32_e32 v46, v39, v57
	v_fmamk_f32 v34, v46, 0x3f3504f3, v42
	s_delay_alu instid0(VALU_DEP_3) | instskip(SKIP_1) | instid1(VALU_DEP_1)
	v_sub_f32_e32 v12, v13, v56
	v_sub_f32_e32 v55, v53, v65
	;; [unrolled: 1-line block ×3, first 2 shown]
	s_delay_alu instid0(VALU_DEP_1) | instskip(NEXT) | instid1(VALU_DEP_4)
	v_fmac_f32_e32 v34, 0x3f3504f3, v40
	v_fmamk_f32 v33, v40, 0x3f3504f3, v12
	s_delay_alu instid0(VALU_DEP_1)
	v_fmac_f32_e32 v33, 0xbf3504f3, v46
	s_and_saveexec_b32 s2, vcc_lo
	s_cbranch_execz .LBB0_5
; %bb.4:
	v_fma_f32 v58, v36, 2.0, -v38
	v_fma_f32 v36, v54, 2.0, -v56
	;; [unrolled: 1-line block ×7, first 2 shown]
	s_delay_alu instid0(VALU_DEP_4)
	v_sub_f32_e32 v56, v45, v41
	v_fma_f32 v41, v43, 2.0, -v44
	v_fma_f32 v44, v52, 2.0, -v39
	;; [unrolled: 1-line block ×3, first 2 shown]
	v_sub_f32_e32 v54, v58, v36
	v_fma_f32 v52, v38, 2.0, -v42
	v_fma_f32 v39, v39, 2.0, -v46
	;; [unrolled: 1-line block ×3, first 2 shown]
	v_sub_f32_e32 v53, v44, v43
	s_delay_alu instid0(VALU_DEP_3) | instskip(NEXT) | instid1(VALU_DEP_2)
	v_dual_fmamk_f32 v43, v39, 0xbf3504f3, v52 :: v_dual_add_f32 v36, v54, v56
	v_fma_f32 v40, v44, 2.0, -v53
	v_sub_f32_e32 v46, v35, v41
	v_fma_f32 v44, v45, 2.0, -v56
	s_delay_alu instid0(VALU_DEP_4) | instskip(SKIP_2) | instid1(VALU_DEP_1)
	v_fmac_f32_e32 v43, 0x3f3504f3, v37
	v_fma_f32 v41, v54, 2.0, -v36
	v_fma_f32 v54, v58, 2.0, -v54
	v_sub_f32_e32 v45, v54, v40
	v_fma_f32 v57, v35, 2.0, -v46
	v_dual_fmamk_f32 v42, v37, 0xbf3504f3, v13 :: v_dual_sub_f32 v35, v46, v53
	v_fma_f32 v53, v52, 2.0, -v43
	s_delay_alu instid0(VALU_DEP_4) | instskip(NEXT) | instid1(VALU_DEP_4)
	v_fma_f32 v55, v54, 2.0, -v45
	v_sub_f32_e32 v44, v57, v44
	s_delay_alu instid0(VALU_DEP_4) | instskip(SKIP_2) | instid1(VALU_DEP_4)
	v_fmac_f32_e32 v42, 0xbf3504f3, v39
	v_fma_f32 v40, v46, 2.0, -v35
	v_fma_f32 v37, v12, 2.0, -v33
	;; [unrolled: 1-line block ×3, first 2 shown]
	s_delay_alu instid0(VALU_DEP_4)
	v_fma_f32 v52, v13, 2.0, -v42
	ds_store_b64 v49, v[54:55]
	ds_store_2addr_b64 v48, v[52:53], v[40:41] offset0:7 offset1:14
	ds_store_2addr_b64 v48, v[37:38], v[44:45] offset0:21 offset1:28
	;; [unrolled: 1-line block ×3, first 2 shown]
	ds_store_b64 v48, v[33:34] offset:392
.LBB0_5:
	s_wait_alu 0xfffe
	s_or_b32 exec_lo, exec_lo, s2
	global_wb scope:SCOPE_SE
	s_wait_dscnt 0x0
	s_barrier_signal -1
	s_barrier_wait -1
	global_inv scope:SCOPE_SE
	global_load_b64 v[12:13], v[14:15], off offset:448
	s_add_nc_u64 s[2:3], s[8:9], 0x1c0
	s_clause 0x5
	global_load_b64 v[43:44], v50, s[2:3] offset:64
	global_load_b64 v[45:46], v50, s[2:3] offset:128
	;; [unrolled: 1-line block ×6, first 2 shown]
	ds_load_b64 v[14:15], v49
	s_wait_loadcnt_dscnt 0x600
	v_mul_f32_e32 v35, v15, v13
	v_mul_f32_e32 v36, v14, v13
	s_delay_alu instid0(VALU_DEP_2) | instskip(NEXT) | instid1(VALU_DEP_2)
	v_fma_f32 v35, v14, v12, -v35
	v_fmac_f32_e32 v36, v15, v12
	ds_store_b64 v49, v[35:36]
	ds_load_2addr_b64 v[12:15], v48 offset0:8 offset1:16
	ds_load_2addr_b64 v[35:38], v48 offset0:24 offset1:32
	;; [unrolled: 1-line block ×3, first 2 shown]
	s_wait_loadcnt_dscnt 0x201
	v_dual_mul_f32 v50, v13, v44 :: v_dual_mul_f32 v63, v38, v55
	v_dual_mul_f32 v60, v12, v44 :: v_dual_mul_f32 v61, v15, v46
	v_mul_f32_e32 v44, v14, v46
	s_wait_loadcnt_dscnt 0x0
	v_dual_mul_f32 v62, v36, v53 :: v_dual_mul_f32 v65, v42, v59
	v_dual_mul_f32 v46, v35, v53 :: v_dual_mul_f32 v53, v37, v55
	v_mul_f32_e32 v64, v40, v57
	v_mul_f32_e32 v55, v39, v57
	;; [unrolled: 1-line block ×3, first 2 shown]
	v_fma_f32 v59, v12, v43, -v50
	v_dual_fmac_f32 v53, v38, v54 :: v_dual_fmac_f32 v60, v13, v43
	s_delay_alu instid0(VALU_DEP_4)
	v_fmac_f32_e32 v55, v40, v56
	v_fma_f32 v43, v14, v45, -v61
	v_dual_fmac_f32 v44, v15, v45 :: v_dual_fmac_f32 v57, v42, v58
	v_fma_f32 v45, v35, v52, -v62
	v_fmac_f32_e32 v46, v36, v52
	v_fma_f32 v52, v37, v54, -v63
	v_fma_f32 v54, v39, v56, -v64
	;; [unrolled: 1-line block ×3, first 2 shown]
	ds_store_2addr_b64 v48, v[59:60], v[43:44] offset0:8 offset1:16
	ds_store_2addr_b64 v48, v[45:46], v[52:53] offset0:24 offset1:32
	;; [unrolled: 1-line block ×3, first 2 shown]
	global_wb scope:SCOPE_SE
	s_wait_dscnt 0x0
	s_barrier_signal -1
	s_barrier_wait -1
	global_inv scope:SCOPE_SE
	ds_load_2addr_b64 v[12:15], v48 offset0:8 offset1:16
	ds_load_2addr_b64 v[35:38], v48 offset0:40 offset1:48
	;; [unrolled: 1-line block ×3, first 2 shown]
	ds_load_b64 v[43:44], v49
	global_wb scope:SCOPE_SE
	s_wait_dscnt 0x0
	s_barrier_signal -1
	s_barrier_wait -1
	global_inv scope:SCOPE_SE
	v_dual_add_f32 v45, v12, v37 :: v_dual_add_f32 v46, v13, v38
	v_dual_sub_f32 v12, v12, v37 :: v_dual_add_f32 v37, v14, v35
	v_dual_sub_f32 v13, v13, v38 :: v_dual_add_f32 v38, v15, v36
	v_dual_sub_f32 v14, v14, v35 :: v_dual_sub_f32 v15, v15, v36
	v_dual_add_f32 v35, v39, v41 :: v_dual_add_f32 v36, v40, v42
	v_dual_sub_f32 v39, v41, v39 :: v_dual_sub_f32 v40, v42, v40
	s_delay_alu instid0(VALU_DEP_4) | instskip(NEXT) | instid1(VALU_DEP_2)
	v_dual_add_f32 v41, v37, v45 :: v_dual_add_f32 v42, v38, v46
	v_dual_sub_f32 v50, v37, v45 :: v_dual_add_f32 v53, v39, v14
	s_delay_alu instid0(VALU_DEP_4)
	v_dual_sub_f32 v52, v38, v46 :: v_dual_sub_f32 v37, v35, v37
	v_dual_sub_f32 v45, v45, v35 :: v_dual_sub_f32 v46, v46, v36
	v_sub_f32_e32 v55, v39, v14
	v_sub_f32_e32 v38, v36, v38
	v_dual_add_f32 v54, v40, v15 :: v_dual_add_f32 v41, v35, v41
	v_sub_f32_e32 v56, v40, v15
	v_dual_sub_f32 v14, v14, v12 :: v_dual_mul_f32 v45, 0x3f4a47b2, v45
	v_sub_f32_e32 v15, v15, v13
	v_dual_sub_f32 v39, v12, v39 :: v_dual_sub_f32 v40, v13, v40
	v_add_f32_e32 v42, v36, v42
	v_dual_add_f32 v12, v53, v12 :: v_dual_mul_f32 v55, 0x3f08b237, v55
	v_dual_add_f32 v13, v54, v13 :: v_dual_mul_f32 v46, 0x3f4a47b2, v46
	v_add_f32_e32 v35, v43, v41
	v_dual_mul_f32 v53, 0x3d64c772, v37 :: v_dual_mul_f32 v54, 0x3d64c772, v38
	v_fmamk_f32 v37, v37, 0x3d64c772, v45
	v_dual_mul_f32 v57, 0xbf5ff5aa, v14 :: v_dual_mul_f32 v58, 0xbf5ff5aa, v15
	v_add_f32_e32 v36, v44, v42
	s_delay_alu instid0(VALU_DEP_4)
	v_fma_f32 v43, 0x3f3bfb3b, v50, -v53
	v_fma_f32 v44, 0x3f3bfb3b, v52, -v54
	v_fmamk_f32 v38, v38, 0x3d64c772, v46
	v_mul_f32_e32 v56, 0x3f08b237, v56
	v_fma_f32 v45, 0xbf3bfb3b, v50, -v45
	v_fma_f32 v46, 0xbf3bfb3b, v52, -v46
	v_fmamk_f32 v50, v39, 0xbeae86e6, v55
	v_fma_f32 v53, 0x3eae86e6, v39, -v57
	v_fma_f32 v39, 0x3eae86e6, v40, -v58
	v_fma_f32 v14, 0xbf5ff5aa, v14, -v55
	s_delay_alu instid0(VALU_DEP_2) | instskip(SKIP_2) | instid1(VALU_DEP_1)
	v_dual_fmac_f32 v50, 0xbee1c552, v12 :: v_dual_fmac_f32 v39, 0xbee1c552, v13
	v_fmamk_f32 v52, v40, 0xbeae86e6, v56
	v_dual_fmamk_f32 v40, v41, 0xbf955555, v35 :: v_dual_fmamk_f32 v41, v42, 0xbf955555, v36
	v_dual_fmac_f32 v14, 0xbee1c552, v12 :: v_dual_add_f32 v55, v38, v41
	v_fma_f32 v15, 0xbf5ff5aa, v15, -v56
	v_fmac_f32_e32 v53, 0xbee1c552, v12
	s_delay_alu instid0(VALU_DEP_4) | instskip(SKIP_1) | instid1(VALU_DEP_4)
	v_add_f32_e32 v54, v37, v40
	v_add_f32_e32 v12, v43, v40
	v_dual_add_f32 v40, v45, v40 :: v_dual_fmac_f32 v15, 0xbee1c552, v13
	v_dual_add_f32 v45, v46, v41 :: v_dual_sub_f32 v42, v55, v50
	s_delay_alu instid0(VALU_DEP_2) | instskip(SKIP_1) | instid1(VALU_DEP_3)
	v_dual_add_f32 v37, v39, v40 :: v_dual_fmac_f32 v52, 0xbee1c552, v13
	v_add_f32_e32 v13, v44, v41
	v_dual_sub_f32 v38, v45, v53 :: v_dual_sub_f32 v39, v40, v39
	v_add_f32_e32 v40, v53, v45
	s_delay_alu instid0(VALU_DEP_3)
	v_dual_add_f32 v44, v14, v13 :: v_dual_sub_f32 v13, v13, v14
	v_dual_sub_f32 v43, v12, v15 :: v_dual_add_f32 v12, v15, v12
	v_add_f32_e32 v15, v50, v55
	v_add_f32_e32 v41, v54, v52
	v_sub_f32_e32 v14, v54, v52
	ds_store_2addr_b64 v51, v[35:36], v[41:42] offset1:1
	ds_store_2addr_b64 v51, v[37:38], v[43:44] offset0:2 offset1:3
	ds_store_2addr_b64 v51, v[12:13], v[39:40] offset0:4 offset1:5
	ds_store_b64 v51, v[14:15] offset:48
	global_wb scope:SCOPE_SE
	s_wait_dscnt 0x0
	s_barrier_signal -1
	s_barrier_wait -1
	global_inv scope:SCOPE_SE
	s_and_saveexec_b32 s2, vcc_lo
	s_cbranch_execz .LBB0_7
; %bb.6:
	ds_load_2addr_b64 v[12:15], v48 offset0:35 offset1:42
	ds_load_2addr_b64 v[41:44], v48 offset0:21 offset1:28
	;; [unrolled: 1-line block ×3, first 2 shown]
	ds_load_b64 v[35:36], v49
	ds_load_b64 v[33:34], v48 offset:392
	s_wait_dscnt 0x4
	v_dual_mov_b32 v39, v12 :: v_dual_mov_b32 v40, v13
	s_wait_dscnt 0x3
	v_dual_mov_b32 v12, v43 :: v_dual_mov_b32 v13, v44
	v_dual_mov_b32 v43, v41 :: v_dual_mov_b32 v44, v42
	s_wait_dscnt 0x2
	v_dual_mov_b32 v37, v52 :: v_dual_mov_b32 v38, v53
	v_dual_mov_b32 v41, v50 :: v_dual_mov_b32 v42, v51
.LBB0_7:
	s_wait_alu 0xfffe
	s_or_b32 exec_lo, exec_lo, s2
	s_and_saveexec_b32 s2, vcc_lo
	s_cbranch_execz .LBB0_9
; %bb.8:
	v_dual_mul_f32 v46, v7, v38 :: v_dual_mul_f32 v51, v5, v41
	v_mul_f32_e32 v45, v3, v12
	v_dual_mul_f32 v50, v11, v15 :: v_dual_mul_f32 v53, v1, v44
	s_delay_alu instid0(VALU_DEP_3)
	v_fmac_f32_e32 v46, v6, v37
	s_wait_dscnt 0x0
	v_dual_mul_f32 v54, v32, v34 :: v_dual_mul_f32 v1, v1, v43
	v_fma_f32 v45, v2, v13, -v45
	v_dual_fmac_f32 v50, v10, v14 :: v_dual_fmac_f32 v53, v0, v43
	v_mul_f32_e32 v52, v9, v39
	v_mul_f32_e32 v32, v32, v33
	s_delay_alu instid0(VALU_DEP_3)
	v_dual_sub_f32 v45, v36, v45 :: v_dual_sub_f32 v50, v46, v50
	v_fma_f32 v44, v0, v44, -v1
	v_dual_mul_f32 v1, v9, v40 :: v_dual_fmac_f32 v54, v31, v33
	v_dual_mul_f32 v0, v5, v42 :: v_dual_mul_f32 v3, v3, v13
	v_fma_f32 v51, v4, v42, -v51
	v_fma_f32 v52, v8, v40, -v52
	v_sub_f32_e32 v43, v45, v50
	v_dual_sub_f32 v54, v53, v54 :: v_dual_mul_f32 v7, v7, v37
	v_mul_f32_e32 v9, v11, v14
	v_fma_f32 v5, v31, v34, -v32
	v_dual_fmac_f32 v0, v4, v41 :: v_dual_fmac_f32 v3, v2, v12
	v_dual_sub_f32 v52, v51, v52 :: v_dual_fmac_f32 v1, v8, v39
	v_fma_f32 v4, v6, v38, -v7
	v_fma_f32 v6, v10, v15, -v9
	s_delay_alu instid0(VALU_DEP_4) | instskip(NEXT) | instid1(VALU_DEP_4)
	v_dual_sub_f32 v7, v44, v5 :: v_dual_sub_f32 v10, v35, v3
	v_sub_f32_e32 v8, v0, v1
	v_sub_f32_e32 v33, v52, v54
	v_fma_f32 v9, v46, 2.0, -v50
	v_fma_f32 v11, v36, 2.0, -v45
	;; [unrolled: 1-line block ×3, first 2 shown]
	v_sub_f32_e32 v2, v4, v6
	v_dual_add_f32 v6, v7, v8 :: v_dual_fmamk_f32 v1, v33, 0x3f3504f3, v43
	v_fma_f32 v15, v51, 2.0, -v52
	v_fma_f32 v31, v44, 2.0, -v7
	s_delay_alu instid0(VALU_DEP_4) | instskip(SKIP_3) | instid1(VALU_DEP_4)
	v_fma_f32 v3, v4, 2.0, -v2
	v_fma_f32 v4, v0, 2.0, -v8
	;; [unrolled: 1-line block ×3, first 2 shown]
	v_add_f32_e32 v2, v2, v10
	v_dual_fmac_f32 v1, 0xbf3504f3, v6 :: v_dual_sub_f32 v12, v11, v3
	v_fma_f32 v32, v45, 2.0, -v43
	s_delay_alu instid0(VALU_DEP_3) | instskip(SKIP_3) | instid1(VALU_DEP_4)
	v_dual_sub_f32 v13, v4, v0 :: v_dual_fmamk_f32 v0, v6, 0x3f3504f3, v2
	v_fma_f32 v34, v52, 2.0, -v33
	v_sub_f32_e32 v31, v15, v31
	v_fma_f32 v6, v8, 2.0, -v6
	v_sub_f32_e32 v5, v12, v13
	v_fmac_f32_e32 v0, 0x3f3504f3, v33
	v_sub_f32_e32 v33, v14, v9
	v_fma_f32 v35, v10, 2.0, -v2
	v_fmamk_f32 v9, v34, 0xbf3504f3, v32
	v_fma_f32 v7, v12, 2.0, -v5
	v_fma_f32 v12, v11, 2.0, -v12
	;; [unrolled: 1-line block ×5, first 2 shown]
	v_add_f32_e32 v4, v33, v31
	s_delay_alu instid0(VALU_DEP_4) | instskip(NEXT) | instid1(VALU_DEP_3)
	v_dual_fmamk_f32 v8, v6, 0xbf3504f3, v35 :: v_dual_sub_f32 v11, v12, v10
	v_dual_fmac_f32 v9, 0xbf3504f3, v6 :: v_dual_sub_f32 v10, v14, v13
	s_delay_alu instid0(VALU_DEP_3) | instskip(NEXT) | instid1(VALU_DEP_3)
	v_fma_f32 v6, v33, 2.0, -v4
	v_fmac_f32_e32 v8, 0x3f3504f3, v34
	s_delay_alu instid0(VALU_DEP_4) | instskip(NEXT) | instid1(VALU_DEP_4)
	v_fma_f32 v15, v12, 2.0, -v11
	v_fma_f32 v13, v32, 2.0, -v9
	v_fma_f32 v14, v14, 2.0, -v10
	v_fma_f32 v3, v43, 2.0, -v1
	v_fma_f32 v12, v35, 2.0, -v8
	v_fma_f32 v2, v2, 2.0, -v0
	ds_store_b64 v49, v[14:15]
	ds_store_2addr_b64 v48, v[12:13], v[6:7] offset0:7 offset1:14
	ds_store_2addr_b64 v48, v[2:3], v[10:11] offset0:21 offset1:28
	;; [unrolled: 1-line block ×3, first 2 shown]
	ds_store_b64 v48, v[0:1] offset:392
.LBB0_9:
	s_wait_alu 0xfffe
	s_or_b32 exec_lo, exec_lo, s2
	global_wb scope:SCOPE_SE
	s_wait_dscnt 0x0
	s_barrier_signal -1
	s_barrier_wait -1
	global_inv scope:SCOPE_SE
	ds_load_b64 v[12:13], v49
	ds_load_2addr_b64 v[0:3], v48 offset0:8 offset1:16
	ds_load_2addr_b64 v[4:7], v48 offset0:24 offset1:32
	;; [unrolled: 1-line block ×3, first 2 shown]
	s_mov_b32 s2, 0x92492492
	s_mov_b32 s3, 0x3f924924
	s_wait_dscnt 0x2
	v_dual_mul_f32 v14, v18, v13 :: v_dual_mul_f32 v31, v24, v3
	v_dual_mul_f32 v15, v18, v12 :: v_dual_mul_f32 v18, v20, v1
	s_wait_dscnt 0x1
	v_dual_mul_f32 v20, v20, v0 :: v_dual_mul_f32 v33, v22, v7
	s_delay_alu instid0(VALU_DEP_3) | instskip(SKIP_2) | instid1(VALU_DEP_4)
	v_dual_mul_f32 v32, v26, v5 :: v_dual_fmac_f32 v31, v23, v2
	v_fmac_f32_e32 v14, v17, v12
	v_mul_f32_e32 v24, v24, v2
	v_dual_mul_f32 v26, v26, v4 :: v_dual_fmac_f32 v33, v21, v6
	v_mul_f32_e32 v6, v22, v6
	v_fma_f32 v12, v17, v13, -v15
	s_wait_dscnt 0x0
	v_mul_f32_e32 v22, v28, v9
	v_mul_f32_e32 v28, v28, v8
	v_fmac_f32_e32 v18, v19, v0
	v_fma_f32 v13, v19, v1, -v20
	v_cvt_f64_f32_e32 v[0:1], v14
	v_cvt_f64_f32_e32 v[14:15], v31
	v_mul_f32_e32 v31, v30, v11
	v_mul_f32_e32 v30, v30, v10
	v_fma_f32 v17, v23, v3, -v24
	v_fmac_f32_e32 v32, v25, v4
	v_fma_f32 v23, v25, v5, -v26
	v_fmac_f32_e32 v31, v29, v10
	v_fma_f32 v6, v21, v7, -v6
	v_cvt_f64_f32_e32 v[2:3], v12
	v_fmac_f32_e32 v22, v27, v8
	v_fma_f32 v21, v27, v9, -v28
	v_cvt_f64_f32_e32 v[4:5], v18
	v_cvt_f64_f32_e32 v[12:13], v13
	v_fma_f32 v27, v29, v11, -v30
	v_cvt_f64_f32_e32 v[17:18], v17
	v_cvt_f64_f32_e32 v[19:20], v32
	;; [unrolled: 1-line block ×9, first 2 shown]
	v_mad_co_u64_u32 v[29:30], null, s6, v16, 0
	v_mad_co_u64_u32 v[31:32], null, s4, v47, 0
	s_delay_alu instid0(VALU_DEP_1) | instskip(SKIP_3) | instid1(VALU_DEP_3)
	v_mad_co_u64_u32 v[33:34], null, s7, v16, v[30:31]
	s_wait_alu 0xfffe
	v_mul_f64_e32 v[0:1], s[2:3], v[0:1]
	v_mul_f64_e32 v[14:15], s[2:3], v[14:15]
	v_mad_co_u64_u32 v[34:35], null, s5, v47, v[32:33]
	v_mov_b32_e32 v30, v33
	v_mul_f64_e32 v[2:3], s[2:3], v[2:3]
	s_delay_alu instid0(VALU_DEP_2)
	v_lshlrev_b64_e32 v[29:30], 3, v[29:30]
	v_mul_f64_e32 v[4:5], s[2:3], v[4:5]
	v_mul_f64_e32 v[12:13], s[2:3], v[12:13]
	v_mov_b32_e32 v32, v34
	v_mul_f64_e32 v[17:18], s[2:3], v[17:18]
	v_mul_f64_e32 v[19:20], s[2:3], v[19:20]
	;; [unrolled: 1-line block ×9, first 2 shown]
	v_lshlrev_b64_e32 v[31:32], 3, v[31:32]
	v_add_co_u32 v16, vcc_lo, s0, v29
	s_wait_alu 0xfffd
	v_add_co_ci_u32_e32 v29, vcc_lo, s1, v30, vcc_lo
	s_lshl_b64 s[0:1], s[4:5], 6
	v_cvt_f32_f64_e32 v0, v[0:1]
	v_cvt_f32_f64_e32 v1, v[2:3]
	;; [unrolled: 1-line block ×14, first 2 shown]
	v_add_co_u32 v10, vcc_lo, v16, v31
	s_wait_alu 0xfffd
	v_add_co_ci_u32_e32 v11, vcc_lo, v29, v32, vcc_lo
	s_wait_alu 0xfffe
	s_delay_alu instid0(VALU_DEP_2) | instskip(SKIP_1) | instid1(VALU_DEP_2)
	v_add_co_u32 v16, vcc_lo, v10, s0
	s_wait_alu 0xfffd
	v_add_co_ci_u32_e32 v17, vcc_lo, s1, v11, vcc_lo
	s_delay_alu instid0(VALU_DEP_2) | instskip(SKIP_1) | instid1(VALU_DEP_2)
	v_add_co_u32 v18, vcc_lo, v16, s0
	s_wait_alu 0xfffd
	v_add_co_ci_u32_e32 v19, vcc_lo, s1, v17, vcc_lo
	s_delay_alu instid0(VALU_DEP_2) | instskip(SKIP_1) | instid1(VALU_DEP_2)
	v_add_co_u32 v20, vcc_lo, v18, s0
	s_wait_alu 0xfffd
	v_add_co_ci_u32_e32 v21, vcc_lo, s1, v19, vcc_lo
	s_delay_alu instid0(VALU_DEP_2) | instskip(SKIP_1) | instid1(VALU_DEP_2)
	v_add_co_u32 v22, vcc_lo, v20, s0
	s_wait_alu 0xfffd
	v_add_co_ci_u32_e32 v23, vcc_lo, s1, v21, vcc_lo
	s_delay_alu instid0(VALU_DEP_2) | instskip(SKIP_1) | instid1(VALU_DEP_2)
	v_add_co_u32 v24, vcc_lo, v22, s0
	s_wait_alu 0xfffd
	v_add_co_ci_u32_e32 v25, vcc_lo, s1, v23, vcc_lo
	s_delay_alu instid0(VALU_DEP_2) | instskip(SKIP_1) | instid1(VALU_DEP_2)
	v_add_co_u32 v26, vcc_lo, v24, s0
	s_wait_alu 0xfffd
	v_add_co_ci_u32_e32 v27, vcc_lo, s1, v25, vcc_lo
	s_clause 0x4
	global_store_b64 v[10:11], v[0:1], off
	global_store_b64 v[16:17], v[2:3], off
	;; [unrolled: 1-line block ×7, first 2 shown]
.LBB0_10:
	s_nop 0
	s_sendmsg sendmsg(MSG_DEALLOC_VGPRS)
	s_endpgm
	.section	.rodata,"a",@progbits
	.p2align	6, 0x0
	.amdhsa_kernel bluestein_single_back_len56_dim1_sp_op_CI_CI
		.amdhsa_group_segment_fixed_size 7168
		.amdhsa_private_segment_fixed_size 0
		.amdhsa_kernarg_size 104
		.amdhsa_user_sgpr_count 2
		.amdhsa_user_sgpr_dispatch_ptr 0
		.amdhsa_user_sgpr_queue_ptr 0
		.amdhsa_user_sgpr_kernarg_segment_ptr 1
		.amdhsa_user_sgpr_dispatch_id 0
		.amdhsa_user_sgpr_private_segment_size 0
		.amdhsa_wavefront_size32 1
		.amdhsa_uses_dynamic_stack 0
		.amdhsa_enable_private_segment 0
		.amdhsa_system_sgpr_workgroup_id_x 1
		.amdhsa_system_sgpr_workgroup_id_y 0
		.amdhsa_system_sgpr_workgroup_id_z 0
		.amdhsa_system_sgpr_workgroup_info 0
		.amdhsa_system_vgpr_workitem_id 0
		.amdhsa_next_free_vgpr 66
		.amdhsa_next_free_sgpr 20
		.amdhsa_reserve_vcc 1
		.amdhsa_float_round_mode_32 0
		.amdhsa_float_round_mode_16_64 0
		.amdhsa_float_denorm_mode_32 3
		.amdhsa_float_denorm_mode_16_64 3
		.amdhsa_fp16_overflow 0
		.amdhsa_workgroup_processor_mode 1
		.amdhsa_memory_ordered 1
		.amdhsa_forward_progress 0
		.amdhsa_round_robin_scheduling 0
		.amdhsa_exception_fp_ieee_invalid_op 0
		.amdhsa_exception_fp_denorm_src 0
		.amdhsa_exception_fp_ieee_div_zero 0
		.amdhsa_exception_fp_ieee_overflow 0
		.amdhsa_exception_fp_ieee_underflow 0
		.amdhsa_exception_fp_ieee_inexact 0
		.amdhsa_exception_int_div_zero 0
	.end_amdhsa_kernel
	.text
.Lfunc_end0:
	.size	bluestein_single_back_len56_dim1_sp_op_CI_CI, .Lfunc_end0-bluestein_single_back_len56_dim1_sp_op_CI_CI
                                        ; -- End function
	.section	.AMDGPU.csdata,"",@progbits
; Kernel info:
; codeLenInByte = 4592
; NumSgprs: 22
; NumVgprs: 66
; ScratchSize: 0
; MemoryBound: 0
; FloatMode: 240
; IeeeMode: 1
; LDSByteSize: 7168 bytes/workgroup (compile time only)
; SGPRBlocks: 2
; VGPRBlocks: 8
; NumSGPRsForWavesPerEU: 22
; NumVGPRsForWavesPerEU: 66
; Occupancy: 16
; WaveLimiterHint : 1
; COMPUTE_PGM_RSRC2:SCRATCH_EN: 0
; COMPUTE_PGM_RSRC2:USER_SGPR: 2
; COMPUTE_PGM_RSRC2:TRAP_HANDLER: 0
; COMPUTE_PGM_RSRC2:TGID_X_EN: 1
; COMPUTE_PGM_RSRC2:TGID_Y_EN: 0
; COMPUTE_PGM_RSRC2:TGID_Z_EN: 0
; COMPUTE_PGM_RSRC2:TIDIG_COMP_CNT: 0
	.text
	.p2alignl 7, 3214868480
	.fill 96, 4, 3214868480
	.type	__hip_cuid_b8bf15420add1512,@object ; @__hip_cuid_b8bf15420add1512
	.section	.bss,"aw",@nobits
	.globl	__hip_cuid_b8bf15420add1512
__hip_cuid_b8bf15420add1512:
	.byte	0                               ; 0x0
	.size	__hip_cuid_b8bf15420add1512, 1

	.ident	"AMD clang version 19.0.0git (https://github.com/RadeonOpenCompute/llvm-project roc-6.4.0 25133 c7fe45cf4b819c5991fe208aaa96edf142730f1d)"
	.section	".note.GNU-stack","",@progbits
	.addrsig
	.addrsig_sym __hip_cuid_b8bf15420add1512
	.amdgpu_metadata
---
amdhsa.kernels:
  - .args:
      - .actual_access:  read_only
        .address_space:  global
        .offset:         0
        .size:           8
        .value_kind:     global_buffer
      - .actual_access:  read_only
        .address_space:  global
        .offset:         8
        .size:           8
        .value_kind:     global_buffer
      - .actual_access:  read_only
        .address_space:  global
        .offset:         16
        .size:           8
        .value_kind:     global_buffer
      - .actual_access:  read_only
        .address_space:  global
        .offset:         24
        .size:           8
        .value_kind:     global_buffer
      - .actual_access:  read_only
        .address_space:  global
        .offset:         32
        .size:           8
        .value_kind:     global_buffer
      - .offset:         40
        .size:           8
        .value_kind:     by_value
      - .address_space:  global
        .offset:         48
        .size:           8
        .value_kind:     global_buffer
      - .address_space:  global
        .offset:         56
        .size:           8
        .value_kind:     global_buffer
      - .address_space:  global
        .offset:         64
        .size:           8
        .value_kind:     global_buffer
      - .address_space:  global
        .offset:         72
        .size:           8
        .value_kind:     global_buffer
      - .offset:         80
        .size:           4
        .value_kind:     by_value
      - .address_space:  global
        .offset:         88
        .size:           8
        .value_kind:     global_buffer
      - .address_space:  global
        .offset:         96
        .size:           8
        .value_kind:     global_buffer
    .group_segment_fixed_size: 7168
    .kernarg_segment_align: 8
    .kernarg_segment_size: 104
    .language:       OpenCL C
    .language_version:
      - 2
      - 0
    .max_flat_workgroup_size: 128
    .name:           bluestein_single_back_len56_dim1_sp_op_CI_CI
    .private_segment_fixed_size: 0
    .sgpr_count:     22
    .sgpr_spill_count: 0
    .symbol:         bluestein_single_back_len56_dim1_sp_op_CI_CI.kd
    .uniform_work_group_size: 1
    .uses_dynamic_stack: false
    .vgpr_count:     66
    .vgpr_spill_count: 0
    .wavefront_size: 32
    .workgroup_processor_mode: 1
amdhsa.target:   amdgcn-amd-amdhsa--gfx1201
amdhsa.version:
  - 1
  - 2
...

	.end_amdgpu_metadata
